;; amdgpu-corpus repo=ROCm/rocFFT kind=compiled arch=gfx950 opt=O3
	.text
	.amdgcn_target "amdgcn-amd-amdhsa--gfx950"
	.amdhsa_code_object_version 6
	.protected	fft_rtc_fwd_len91_factors_7_13_wgs_247_tpt_13_sp_ip_CI_unitstride_sbrr_dirReg ; -- Begin function fft_rtc_fwd_len91_factors_7_13_wgs_247_tpt_13_sp_ip_CI_unitstride_sbrr_dirReg
	.globl	fft_rtc_fwd_len91_factors_7_13_wgs_247_tpt_13_sp_ip_CI_unitstride_sbrr_dirReg
	.p2align	8
	.type	fft_rtc_fwd_len91_factors_7_13_wgs_247_tpt_13_sp_ip_CI_unitstride_sbrr_dirReg,@function
fft_rtc_fwd_len91_factors_7_13_wgs_247_tpt_13_sp_ip_CI_unitstride_sbrr_dirReg: ; @fft_rtc_fwd_len91_factors_7_13_wgs_247_tpt_13_sp_ip_CI_unitstride_sbrr_dirReg
; %bb.0:
	s_load_dwordx2 s[8:9], s[0:1], 0x50
	s_load_dwordx4 s[4:7], s[0:1], 0x0
	s_load_dwordx2 s[10:11], s[0:1], 0x18
	v_mul_u32_u24_e32 v1, 0x13b2, v0
	v_lshrrev_b32_e32 v2, 16, v1
	v_mad_u64_u32 v[2:3], s[2:3], s2, 19, v[2:3]
	v_mov_b32_e32 v6, 0
	v_mov_b32_e32 v3, v6
	s_waitcnt lgkmcnt(0)
	v_cmp_lt_u64_e64 s[2:3], s[6:7], 2
	s_and_b64 vcc, exec, s[2:3]
	v_mov_b64_e32 v[4:5], 0
	v_mov_b64_e32 v[10:11], v[2:3]
	s_cbranch_vccnz .LBB0_8
; %bb.1:
	s_load_dwordx2 s[2:3], s[0:1], 0x10
	s_add_u32 s12, s10, 8
	s_addc_u32 s13, s11, 0
	s_mov_b64 s[14:15], 1
	v_mov_b64_e32 v[4:5], 0
	s_waitcnt lgkmcnt(0)
	s_add_u32 s16, s2, 8
	s_addc_u32 s17, s3, 0
	v_mov_b64_e32 v[8:9], v[2:3]
.LBB0_2:                                ; =>This Inner Loop Header: Depth=1
	s_load_dwordx2 s[18:19], s[16:17], 0x0
                                        ; implicit-def: $vgpr10_vgpr11
	s_waitcnt lgkmcnt(0)
	v_or_b32_e32 v7, s19, v9
	v_cmp_ne_u64_e32 vcc, 0, v[6:7]
	s_and_saveexec_b64 s[2:3], vcc
	s_xor_b64 s[20:21], exec, s[2:3]
	s_cbranch_execz .LBB0_4
; %bb.3:                                ;   in Loop: Header=BB0_2 Depth=1
	v_cvt_f32_u32_e32 v1, s18
	v_cvt_f32_u32_e32 v3, s19
	s_sub_u32 s2, 0, s18
	s_subb_u32 s3, 0, s19
	v_fmac_f32_e32 v1, 0x4f800000, v3
	v_rcp_f32_e32 v1, v1
	s_nop 0
	v_mul_f32_e32 v1, 0x5f7ffffc, v1
	v_mul_f32_e32 v3, 0x2f800000, v1
	v_trunc_f32_e32 v3, v3
	v_fmac_f32_e32 v1, 0xcf800000, v3
	v_cvt_u32_f32_e32 v3, v3
	v_cvt_u32_f32_e32 v1, v1
	v_mul_lo_u32 v7, s2, v3
	v_mul_hi_u32 v10, s2, v1
	v_mul_lo_u32 v11, s3, v1
	v_add_u32_e32 v7, v10, v7
	v_mul_lo_u32 v14, s2, v1
	v_add_u32_e32 v7, v7, v11
	v_mul_hi_u32 v10, v1, v14
	v_mul_hi_u32 v13, v1, v7
	v_mul_lo_u32 v12, v1, v7
	v_mov_b32_e32 v11, v6
	v_lshl_add_u64 v[10:11], v[10:11], 0, v[12:13]
	v_mul_hi_u32 v13, v3, v14
	v_mul_lo_u32 v14, v3, v14
	v_add_co_u32_e32 v10, vcc, v10, v14
	v_mul_hi_u32 v12, v3, v7
	s_nop 0
	v_addc_co_u32_e32 v10, vcc, v11, v13, vcc
	v_mov_b32_e32 v11, v6
	s_nop 0
	v_addc_co_u32_e32 v13, vcc, 0, v12, vcc
	v_mul_lo_u32 v12, v3, v7
	v_lshl_add_u64 v[10:11], v[10:11], 0, v[12:13]
	v_add_co_u32_e32 v1, vcc, v1, v10
	v_mul_hi_u32 v10, s2, v1
	s_nop 0
	v_addc_co_u32_e32 v3, vcc, v3, v11, vcc
	v_mul_lo_u32 v7, s2, v3
	v_add_u32_e32 v7, v10, v7
	v_mul_lo_u32 v10, s3, v1
	v_add_u32_e32 v7, v7, v10
	v_mul_lo_u32 v12, s2, v1
	v_mul_hi_u32 v15, v3, v12
	v_mul_lo_u32 v16, v3, v12
	v_mul_hi_u32 v11, v1, v7
	;; [unrolled: 2-line block ×3, first 2 shown]
	v_mov_b32_e32 v13, v6
	v_lshl_add_u64 v[10:11], v[12:13], 0, v[10:11]
	v_add_co_u32_e32 v10, vcc, v10, v16
	v_mul_hi_u32 v14, v3, v7
	s_nop 0
	v_addc_co_u32_e32 v10, vcc, v11, v15, vcc
	v_mul_lo_u32 v12, v3, v7
	s_nop 0
	v_addc_co_u32_e32 v13, vcc, 0, v14, vcc
	v_mov_b32_e32 v11, v6
	v_lshl_add_u64 v[10:11], v[10:11], 0, v[12:13]
	v_add_co_u32_e32 v1, vcc, v1, v10
	v_mul_hi_u32 v12, v8, v1
	s_nop 0
	v_addc_co_u32_e32 v3, vcc, v3, v11, vcc
	v_mad_u64_u32 v[10:11], s[2:3], v8, v3, 0
	v_mov_b32_e32 v13, v6
	v_lshl_add_u64 v[10:11], v[12:13], 0, v[10:11]
	v_mad_u64_u32 v[14:15], s[2:3], v9, v1, 0
	v_add_co_u32_e32 v1, vcc, v10, v14
	v_mad_u64_u32 v[12:13], s[2:3], v9, v3, 0
	s_nop 0
	v_addc_co_u32_e32 v10, vcc, v11, v15, vcc
	v_mov_b32_e32 v11, v6
	s_nop 0
	v_addc_co_u32_e32 v13, vcc, 0, v13, vcc
	v_lshl_add_u64 v[10:11], v[10:11], 0, v[12:13]
	v_mul_lo_u32 v1, s19, v10
	v_mul_lo_u32 v3, s18, v11
	v_mad_u64_u32 v[12:13], s[2:3], s18, v10, 0
	v_add3_u32 v1, v13, v3, v1
	v_sub_u32_e32 v3, v9, v1
	v_mov_b32_e32 v7, s19
	v_sub_co_u32_e32 v16, vcc, v8, v12
	v_lshl_add_u64 v[14:15], v[10:11], 0, 1
	s_nop 0
	v_subb_co_u32_e64 v3, s[2:3], v3, v7, vcc
	v_subrev_co_u32_e64 v7, s[2:3], s18, v16
	v_subb_co_u32_e32 v1, vcc, v9, v1, vcc
	s_nop 0
	v_subbrev_co_u32_e64 v3, s[2:3], 0, v3, s[2:3]
	v_cmp_le_u32_e64 s[2:3], s19, v3
	v_cmp_le_u32_e32 vcc, s19, v1
	s_nop 0
	v_cndmask_b32_e64 v12, 0, -1, s[2:3]
	v_cmp_le_u32_e64 s[2:3], s18, v7
	s_nop 1
	v_cndmask_b32_e64 v7, 0, -1, s[2:3]
	v_cmp_eq_u32_e64 s[2:3], s19, v3
	s_nop 1
	v_cndmask_b32_e64 v3, v12, v7, s[2:3]
	v_lshl_add_u64 v[12:13], v[10:11], 0, 2
	v_cmp_ne_u32_e64 s[2:3], 0, v3
	v_cndmask_b32_e64 v7, 0, -1, vcc
	v_cmp_le_u32_e32 vcc, s18, v16
	v_cndmask_b32_e64 v3, v15, v13, s[2:3]
	s_nop 0
	v_cndmask_b32_e64 v13, 0, -1, vcc
	v_cmp_eq_u32_e32 vcc, s19, v1
	s_nop 1
	v_cndmask_b32_e32 v1, v7, v13, vcc
	v_cmp_ne_u32_e32 vcc, 0, v1
	v_cndmask_b32_e64 v1, v14, v12, s[2:3]
	s_nop 0
	v_cndmask_b32_e32 v11, v11, v3, vcc
	v_cndmask_b32_e32 v10, v10, v1, vcc
.LBB0_4:                                ;   in Loop: Header=BB0_2 Depth=1
	s_andn2_saveexec_b64 s[2:3], s[20:21]
	s_cbranch_execz .LBB0_6
; %bb.5:                                ;   in Loop: Header=BB0_2 Depth=1
	v_cvt_f32_u32_e32 v1, s18
	s_sub_i32 s20, 0, s18
	v_mov_b32_e32 v11, v6
	v_rcp_iflag_f32_e32 v1, v1
	s_nop 0
	v_mul_f32_e32 v1, 0x4f7ffffe, v1
	v_cvt_u32_f32_e32 v1, v1
	v_mul_lo_u32 v3, s20, v1
	v_mul_hi_u32 v3, v1, v3
	v_add_u32_e32 v1, v1, v3
	v_mul_hi_u32 v1, v8, v1
	v_mul_lo_u32 v3, v1, s18
	v_sub_u32_e32 v3, v8, v3
	v_add_u32_e32 v7, 1, v1
	v_subrev_u32_e32 v10, s18, v3
	v_cmp_le_u32_e32 vcc, s18, v3
	s_nop 1
	v_cndmask_b32_e32 v3, v3, v10, vcc
	v_cndmask_b32_e32 v1, v1, v7, vcc
	v_add_u32_e32 v7, 1, v1
	v_cmp_le_u32_e32 vcc, s18, v3
	s_nop 1
	v_cndmask_b32_e32 v10, v1, v7, vcc
.LBB0_6:                                ;   in Loop: Header=BB0_2 Depth=1
	s_or_b64 exec, exec, s[2:3]
	v_mad_u64_u32 v[12:13], s[2:3], v10, s18, 0
	s_load_dwordx2 s[2:3], s[12:13], 0x0
	s_add_u32 s14, s14, 1
	v_mul_lo_u32 v1, v11, s18
	v_mul_lo_u32 v3, v10, s19
	s_addc_u32 s15, s15, 0
	v_add3_u32 v1, v13, v3, v1
	v_sub_co_u32_e32 v3, vcc, v8, v12
	s_add_u32 s12, s12, 8
	s_nop 0
	v_subb_co_u32_e32 v1, vcc, v9, v1, vcc
	s_addc_u32 s13, s13, 0
	v_mov_b64_e32 v[8:9], s[6:7]
	s_waitcnt lgkmcnt(0)
	v_mul_lo_u32 v1, s2, v1
	v_mul_lo_u32 v7, s3, v3
	v_mad_u64_u32 v[4:5], s[2:3], s2, v3, v[4:5]
	s_add_u32 s16, s16, 8
	v_cmp_ge_u64_e32 vcc, s[14:15], v[8:9]
	v_add3_u32 v5, v7, v5, v1
	s_addc_u32 s17, s17, 0
	s_cbranch_vccnz .LBB0_8
; %bb.7:                                ;   in Loop: Header=BB0_2 Depth=1
	v_mov_b64_e32 v[8:9], v[10:11]
	s_branch .LBB0_2
.LBB0_8:
	s_lshl_b64 s[2:3], s[6:7], 3
	s_add_u32 s2, s10, s2
	s_addc_u32 s3, s11, s3
	s_load_dwordx2 s[6:7], s[2:3], 0x0
	s_load_dwordx2 s[10:11], s[0:1], 0x20
	v_mov_b32_e32 v6, 0
	v_mov_b32_e32 v7, v6
                                        ; implicit-def: $vgpr14
                                        ; implicit-def: $vgpr16
                                        ; implicit-def: $vgpr18
	s_waitcnt lgkmcnt(0)
	v_mad_u64_u32 v[8:9], s[0:1], s6, v10, v[4:5]
	v_mul_lo_u32 v1, s6, v11
	v_mul_lo_u32 v3, s7, v10
	s_mov_b32 s0, 0x13b13b14
	v_add3_u32 v9, v3, v9, v1
	v_mul_hi_u32 v1, v0, s0
	v_mul_u32_u24_e32 v1, 13, v1
	v_mov_b64_e32 v[4:5], 0
	v_cmp_gt_u64_e32 vcc, s[10:11], v[10:11]
	v_sub_u32_e32 v10, v0, v1
	v_lshl_add_u64 v[12:13], v[8:9], 3, s[8:9]
	v_mov_b64_e32 v[8:9], v[4:5]
	v_mov_b64_e32 v[0:1], v[4:5]
	s_and_saveexec_b64 s[0:1], vcc
	s_cbranch_execz .LBB0_10
; %bb.9:
	v_mov_b32_e32 v11, 0
	v_lshl_add_u64 v[20:21], v[10:11], 3, v[12:13]
	global_load_dwordx2 v[0:1], v[20:21], off
	global_load_dwordx2 v[4:5], v[20:21], off offset:104
	global_load_dwordx2 v[8:9], v[20:21], off offset:208
	global_load_dwordx2 v[14:15], v[20:21], off offset:312
	global_load_dwordx2 v[6:7], v[20:21], off offset:416
	global_load_dwordx2 v[16:17], v[20:21], off offset:520
	global_load_dwordx2 v[18:19], v[20:21], off offset:624
.LBB0_10:
	s_or_b64 exec, exec, s[0:1]
	s_mov_b32 s0, 0xaf286bcb
	s_waitcnt vmcnt(0)
	v_pk_add_f32 v[22:23], v[4:5], v[18:19] neg_lo:[0,1] neg_hi:[0,1]
	v_pk_add_f32 v[24:25], v[8:9], v[16:17] neg_lo:[0,1] neg_hi:[0,1]
	v_pk_add_f32 v[4:5], v[18:19], v[4:5]
	v_pk_add_f32 v[8:9], v[16:17], v[8:9]
	v_mul_hi_u32 v3, v2, s0
	v_pk_add_f32 v[20:21], v[14:15], v[6:7]
	v_pk_add_f32 v[6:7], v[6:7], v[14:15] neg_lo:[0,1] neg_hi:[0,1]
	v_pk_add_f32 v[14:15], v[4:5], v[8:9]
	v_sub_u32_e32 v11, v2, v3
	v_pk_add_f32 v[16:17], v[8:9], v[4:5] neg_lo:[0,1] neg_hi:[0,1]
	v_pk_add_f32 v[18:19], v[20:21], v[8:9] neg_lo:[0,1] neg_hi:[0,1]
	v_pk_add_f32 v[8:9], v[24:25], v[6:7]
	v_pk_add_f32 v[14:15], v[14:15], v[20:21]
	s_mov_b32 s2, 0x3d64c772
	v_lshrrev_b32_e32 v11, 1, v11
	v_pk_add_f32 v[26:27], v[24:25], v[22:23] neg_lo:[0,1] neg_hi:[0,1]
	v_pk_add_f32 v[24:25], v[6:7], v[24:25] neg_lo:[0,1] neg_hi:[0,1]
	v_pk_add_f32 v[28:29], v[22:23], v[8:9]
	v_pk_add_f32 v[8:9], v[14:15], v[0:1]
	s_mov_b32 s0, 0xbf955555
	v_pk_mul_f32 v[0:1], v[18:19], s[2:3] op_sel_hi:[1,0]
	s_mov_b32 s2, 0x3f3bfb3b
	s_mov_b32 s8, 0xbf08b237
	v_add_u32_e32 v3, v11, v3
	v_pk_mul_f32 v[18:19], v[16:17], s[2:3] op_sel_hi:[1,0]
	v_pk_mul_f32 v[24:25], v[24:25], s[8:9] op_sel_hi:[1,0]
	s_mov_b32 s8, 0x3f5ff5aa
	v_pk_fma_f32 v[14:15], v[14:15], s[0:1], v[8:9] op_sel_hi:[1,0,1]
	v_pk_fma_f32 v[16:17], v[16:17], s[2:3], v[0:1] op_sel_hi:[1,0,1] neg_lo:[0,0,1] neg_hi:[0,0,1]
	v_pk_add_f32 v[4:5], v[4:5], v[20:21] neg_lo:[0,1] neg_hi:[0,1]
	s_mov_b32 s0, 0x3f4a47b2
	v_lshrrev_b32_e32 v3, 4, v3
	v_pk_mul_f32 v[30:31], v[26:27], s[8:9] op_sel_hi:[1,0]
	v_pk_add_f32 v[32:33], v[16:17], v[14:15]
	v_pk_add_f32 v[6:7], v[22:23], v[6:7] neg_lo:[0,1] neg_hi:[0,1]
	v_pk_mul_f32 v[16:17], v[4:5], s[0:1] op_sel_hi:[1,0]
	s_mov_b32 s2, 0x3eae86e6
	v_mul_lo_u32 v3, v3, 19
	s_mov_b32 s6, 0x3ee1c552
	v_pk_add_f32 v[16:17], v[16:17], v[18:19] op_sel:[1,1] op_sel_hi:[0,0] neg_lo:[1,1] neg_hi:[1,1]
	v_pk_fma_f32 v[18:19], v[6:7], s[2:3], v[30:31] op_sel_hi:[1,0,1] neg_lo:[1,0,1] neg_hi:[1,0,1]
	v_pk_fma_f32 v[0:1], v[4:5], s[0:1], v[0:1] op_sel_hi:[1,0,1]
	v_pk_fma_f32 v[4:5], v[6:7], s[2:3], v[24:25] op_sel_hi:[1,0,1]
	v_sub_u32_e32 v2, v2, v3
	v_pk_fma_f32 v[26:27], v[26:27], s[8:9], v[24:25] op_sel_hi:[1,0,1] neg_lo:[0,0,1] neg_hi:[0,0,1]
	v_pk_add_f32 v[20:21], v[16:17], v[14:15] op_sel:[0,1] op_sel_hi:[1,0]
	v_pk_fma_f32 v[18:19], v[28:29], s[6:7], v[18:19] op_sel_hi:[1,0,1]
	v_pk_add_f32 v[0:1], v[0:1], v[14:15]
	v_pk_fma_f32 v[4:5], v[28:29], s[6:7], v[4:5] op_sel_hi:[1,0,1]
	v_mul_u32_u24_e32 v3, 0x5b, v2
	v_pk_fma_f32 v[34:35], v[28:29], s[6:7], v[26:27] op_sel_hi:[1,0,1]
	v_pk_add_f32 v[26:27], v[0:1], v[4:5] op_sel:[1,0] op_sel_hi:[0,1] neg_lo:[0,1] neg_hi:[0,1]
	v_pk_add_f32 v[16:17], v[0:1], v[4:5] op_sel:[1,0] op_sel_hi:[0,1]
	v_pk_add_f32 v[28:29], v[20:21], v[18:19] neg_lo:[0,1] neg_hi:[0,1]
	v_pk_add_f32 v[20:21], v[20:21], v[18:19]
	v_mad_u32_u24 v0, v10, 56, 0
	v_pk_add_f32 v[22:23], v[32:33], v[34:35] op_sel:[1,0] op_sel_hi:[0,1]
	v_pk_add_f32 v[18:19], v[32:33], v[34:35] op_sel:[1,0] op_sel_hi:[0,1] neg_lo:[0,1] neg_hi:[0,1]
	v_lshl_add_u32 v1, v3, 3, v0
	v_mov_b32_e32 v4, v17
	v_mov_b32_e32 v5, v26
	;; [unrolled: 1-line block ×4, first 2 shown]
	ds_write2_b64 v1, v[4:5], v[6:7] offset0:1 offset1:2
	v_mov_b32_e32 v4, v19
	v_mov_b32_e32 v5, v22
	v_mov_b32_e32 v6, v23
	v_mov_b32_e32 v7, v18
	ds_write2_b64 v1, v[4:5], v[6:7] offset0:3 offset1:4
	v_mov_b32_e32 v4, v29
	v_mov_b32_e32 v5, v20
	;; [unrolled: 1-line block ×4, first 2 shown]
	v_cmp_gt_u32_e64 s[0:1], 7, v10
	ds_write_b64 v1, v[8:9]
	ds_write2_b64 v1, v[4:5], v[6:7] offset0:5 offset1:6
	s_waitcnt lgkmcnt(0)
	s_barrier
	s_waitcnt lgkmcnt(0)
                                        ; implicit-def: $vgpr15
                                        ; implicit-def: $vgpr24
                                        ; implicit-def: $vgpr6
                                        ; implicit-def: $vgpr2
	s_and_saveexec_b64 s[2:3], s[0:1]
	s_cbranch_execnz .LBB0_13
; %bb.11:
	s_or_b64 exec, exec, s[2:3]
	s_and_b64 s[0:1], vcc, s[0:1]
	s_and_saveexec_b64 s[2:3], s[0:1]
	s_cbranch_execnz .LBB0_14
.LBB0_12:
	s_endpgm
.LBB0_13:
	v_lshlrev_b32_e32 v1, 3, v3
	v_lshlrev_b32_e32 v2, 3, v10
	v_add3_u32 v2, 0, v1, v2
	ds_read_b64 v[8:9], v2
	v_mul_i32_i24_e32 v2, 0xffffffd0, v10
	v_add3_u32 v11, v0, v2, v1
	ds_read2_b64 v[30:33], v11 offset0:7 offset1:14
	ds_read2_b64 v[34:37], v11 offset0:21 offset1:28
	;; [unrolled: 1-line block ×5, first 2 shown]
	ds_read2_b32 v[14:15], v11 offset0:98 offset1:99
	ds_read_b64 v[24:25], v11 offset:672
	s_waitcnt lgkmcnt(4)
	v_mov_b32_e32 v16, v21
	v_mov_b32_e32 v27, v20
	;; [unrolled: 1-line block ×12, first 2 shown]
	s_or_b64 exec, exec, s[2:3]
	s_and_b64 s[0:1], vcc, s[0:1]
	s_and_saveexec_b64 s[2:3], s[0:1]
	s_cbranch_execz .LBB0_12
.LBB0_14:
	v_mul_u32_u24_e32 v11, 12, v10
	v_lshlrev_b32_e32 v11, 3, v11
	global_load_dwordx4 v[30:33], v11, s[4:5] offset:80
	global_load_dwordx4 v[34:37], v11, s[4:5] offset:64
	;; [unrolled: 1-line block ×4, first 2 shown]
	global_load_dwordx4 v[46:49], v11, s[4:5]
	global_load_dwordx4 v[50:53], v11, s[4:5] offset:16
	s_waitcnt lgkmcnt(0)
	v_mov_b32_e32 v54, v25
	v_mov_b32_e32 v56, v7
	;; [unrolled: 1-line block ×8, first 2 shown]
	v_lshl_add_u64 v[10:11], v[10:11], 3, v[12:13]
	v_mov_b32_e32 v62, v1
	v_mov_b32_e32 v68, v15
	;; [unrolled: 1-line block ×12, first 2 shown]
	s_mov_b32 s19, 0xbeedf032
	s_mov_b32 s18, 0x3f62ad3f
	;; [unrolled: 1-line block ×39, first 2 shown]
	s_waitcnt vmcnt(5)
	v_pk_mul_f32 v[12:13], v[54:55], v[32:33] op_sel_hi:[0,1]
	v_pk_mul_f32 v[54:55], v[56:57], v[30:31] op_sel_hi:[0,1]
	s_waitcnt vmcnt(4)
	v_pk_mul_f32 v[56:57], v[58:59], v[36:37] op_sel_hi:[0,1]
	v_pk_mul_f32 v[58:59], v[60:61], v[34:35] op_sel_hi:[0,1]
	s_waitcnt vmcnt(1)
	v_pk_mul_f32 v[84:85], v[26:27], v[46:47]
	v_pk_fma_f32 v[90:91], v[24:25], v[32:33], v[12:13] op_sel:[0,0,1] op_sel_hi:[0,1,0] neg_lo:[0,0,1] neg_hi:[0,0,1]
	v_pk_fma_f32 v[12:13], v[24:25], v[32:33], v[12:13] op_sel:[0,0,1] op_sel_hi:[0,1,0]
	v_pk_fma_f32 v[24:25], v[6:7], v[30:31], v[54:55] op_sel:[0,0,1] op_sel_hi:[0,1,0] neg_lo:[0,0,1] neg_hi:[0,0,1]
	v_pk_fma_f32 v[30:31], v[6:7], v[30:31], v[54:55] op_sel:[0,0,1] op_sel_hi:[0,1,0]
	;; [unrolled: 2-line block ×3, first 2 shown]
	v_pk_mul_f32 v[60:61], v[62:63], v[40:41] op_sel_hi:[0,1]
	v_pk_mul_f32 v[62:63], v[68:69], v[38:39] op_sel_hi:[0,1]
	v_mov_b32_e32 v68, v47
	v_mov_b32_e32 v2, v85
	v_pk_mul_f32 v[20:21], v[20:21], v[42:43] op_sel_hi:[0,1]
	v_pk_mul_f32 v[16:17], v[16:17], v[44:45] op_sel_hi:[0,1]
	v_mov_b32_e32 v84, v49
	v_pk_mul_f32 v[86:87], v[28:29], v[48:49]
	s_waitcnt vmcnt(0)
	v_pk_mul_f32 v[18:19], v[18:19], v[52:53] op_sel_hi:[0,1]
	v_pk_fma_f32 v[32:33], v[4:5], v[36:37], v[56:57] op_sel:[0,0,1] op_sel_hi:[0,1,0] neg_lo:[0,0,1] neg_hi:[0,0,1]
	v_pk_fma_f32 v[36:37], v[4:5], v[36:37], v[56:57] op_sel:[0,0,1] op_sel_hi:[0,1,0]
	v_pk_fma_f32 v[34:35], v[0:1], v[40:41], v[60:61] op_sel:[0,0,1] op_sel_hi:[1,1,0] neg_lo:[0,0,1] neg_hi:[0,0,1]
	v_pk_fma_f32 v[4:5], v[0:1], v[40:41], v[60:61] op_sel:[0,0,1] op_sel_hi:[0,1,0]
	v_pk_mul_f32 v[0:1], v[26:27], v[68:69]
	v_pk_fma_f32 v[26:27], v[26:27], v[46:47], v[2:3]
	v_mov_b32_e32 v86, v51
	v_pk_mul_f32 v[88:89], v[78:79], v[50:51]
	v_pk_fma_f32 v[40:41], v[14:15], v[38:39], v[62:63] op_sel:[0,0,1] op_sel_hi:[1,1,0] neg_lo:[0,0,1] neg_hi:[0,0,1]
	v_pk_fma_f32 v[6:7], v[14:15], v[38:39], v[62:63] op_sel:[0,0,1] op_sel_hi:[0,1,0]
	v_pk_fma_f32 v[38:39], v[64:65], v[42:43], v[20:21] op_sel:[0,0,1] op_sel_hi:[1,1,0] neg_lo:[0,0,1] neg_hi:[0,0,1]
	v_pk_fma_f32 v[14:15], v[66:67], v[42:43], v[20:21] op_sel:[0,0,1] op_sel_hi:[0,1,0]
	;; [unrolled: 2-line block ×3, first 2 shown]
	v_pk_mul_f32 v[42:43], v[28:29], v[84:85]
	v_mov_b32_e32 v4, v87
	v_pk_fma_f32 v[44:45], v[80:81], v[52:53], v[18:19] op_sel:[0,0,1] op_sel_hi:[1,1,0] neg_lo:[0,0,1] neg_hi:[0,0,1]
	v_pk_fma_f32 v[18:19], v[82:83], v[52:53], v[18:19] op_sel:[0,0,1] op_sel_hi:[0,1,0]
	v_pk_fma_f32 v[56:57], v[74:75], v[46:47], v[0:1] op_sel_hi:[0,1,1] neg_lo:[0,0,1] neg_hi:[0,0,1]
	v_mov_b32_e32 v1, v26
	v_pk_mul_f32 v[52:53], v[78:79], v[86:87]
	v_mov_b32_e32 v6, v89
	v_pk_fma_f32 v[46:47], v[76:77], v[48:49], v[42:43] op_sel_hi:[0,1,1] neg_lo:[0,0,1] neg_hi:[0,0,1]
	v_pk_fma_f32 v[28:29], v[28:29], v[48:49], v[4:5]
	v_mov_b32_e32 v45, v19
	v_pk_add_f32 v[18:19], v[8:9], v[56:57]
	v_pk_add_f32 v[58:59], v[8:9], v[0:1]
	v_pk_fma_f32 v[22:23], v[22:23], v[50:51], v[52:53] op_sel_hi:[0,1,1] neg_lo:[0,0,1] neg_hi:[0,0,1]
	v_pk_fma_f32 v[50:51], v[78:79], v[50:51], v[6:7]
	v_pk_add_f32 v[66:67], v[56:57], v[90:91] neg_lo:[0,1] neg_hi:[0,1]
	v_pk_add_f32 v[68:69], v[46:47], v[24:25] neg_lo:[0,1] neg_hi:[0,1]
	v_pk_add_f32 v[42:43], v[56:57], v[90:91]
	v_mov_b32_e32 v19, v59
	v_pk_add_f32 v[56:57], v[46:47], v[24:25]
	v_mov_b32_e32 v47, v28
	v_mov_b32_e32 v39, v15
	v_pk_add_f32 v[72:73], v[22:23], v[32:33] neg_lo:[0,1] neg_hi:[0,1]
	v_pk_add_f32 v[14:15], v[18:19], v[46:47]
	v_pk_add_f32 v[60:61], v[22:23], v[32:33]
	v_mov_b32_e32 v23, v50
	v_mov_b32_e32 v21, v17
	v_pk_add_f32 v[16:17], v[14:15], v[22:23]
	v_mov_b32_e32 v41, v7
	v_pk_add_f32 v[16:17], v[16:17], v[44:45]
	;; [unrolled: 2-line block ×4, first 2 shown]
	v_pk_add_f32 v[0:1], v[0:1], v[12:13]
	v_pk_add_f32 v[16:17], v[16:17], v[40:41]
	v_mov_b32_e32 v70, v32
	v_pk_add_f32 v[16:17], v[34:35], v[16:17]
	v_mov_b32_e32 v71, v37
	;; [unrolled: 2-line block ×3, first 2 shown]
	v_mov_b32_e32 v65, v31
	v_mov_b32_e32 v0, v13
	v_pk_add_f32 v[16:17], v[70:71], v[16:17]
	v_mov_b32_e32 v52, v90
	v_mov_b32_e32 v53, v13
	v_pk_add_f32 v[48:49], v[26:27], v[0:1] neg_lo:[0,1] neg_hi:[0,1]
	v_mov_b32_e32 v0, v31
	v_pk_add_f32 v[16:17], v[64:65], v[16:17]
	v_pk_add_f32 v[58:59], v[28:29], v[0:1] neg_lo:[0,1] neg_hi:[0,1]
	v_mov_b32_e32 v0, v37
	v_pk_add_f32 v[16:17], v[52:53], v[16:17]
	v_mov_b32_e32 v43, v66
	v_pk_add_f32 v[62:63], v[50:51], v[0:1] neg_lo:[0,1] neg_hi:[0,1]
	global_store_dwordx2 v[10:11], v[16:17], off
	v_pk_mul_f32 v[16:17], v[42:43], s[18:19]
	v_mov_b32_e32 v0, v48
	v_mov_b32_e32 v3, v28
	v_pk_add_f32 v[46:47], v[20:21], v[40:41] neg_lo:[0,1] neg_hi:[0,1]
	v_pk_add_f32 v[14:15], v[20:21], v[40:41]
	v_pk_fma_f32 v[20:21], v[48:49], s[0:1], v[16:17] neg_lo:[1,0,0] neg_hi:[1,0,0]
	v_pk_fma_f32 v[18:19], v[0:1], s[0:1], v[16:17]
	v_pk_add_f32 v[2:3], v[2:3], v[30:31]
	v_mov_b32_e32 v21, v19
	v_mov_b32_e32 v57, v68
	v_pk_add_f32 v[24:25], v[8:9], v[20:21]
	v_pk_mul_f32 v[20:21], v[56:57], s[22:23]
	v_mov_b32_e32 v2, v58
	v_mov_b32_e32 v5, v50
	v_pk_fma_f32 v[26:27], v[58:59], s[2:3], v[20:21] neg_lo:[1,0,0] neg_hi:[1,0,0]
	v_pk_fma_f32 v[22:23], v[2:3], s[2:3], v[20:21]
	v_pk_add_f32 v[4:5], v[4:5], v[36:37]
	v_mov_b32_e32 v27, v23
	v_mov_b32_e32 v61, v72
	v_pk_add_f32 v[28:29], v[24:25], v[26:27]
	v_pk_mul_f32 v[24:25], v[60:61], s[34:35]
	v_mov_b32_e32 v4, v62
	v_pk_add_f32 v[74:75], v[44:45], v[54:55] neg_lo:[0,1] neg_hi:[0,1]
	v_pk_add_f32 v[6:7], v[44:45], v[54:55]
	v_pk_fma_f32 v[30:31], v[62:63], s[4:5], v[24:25] neg_lo:[1,0,0] neg_hi:[1,0,0]
	v_pk_fma_f32 v[26:27], v[4:5], s[4:5], v[24:25]
	v_mov_b32_e32 v78, v6
	v_mov_b32_e32 v31, v27
	;; [unrolled: 1-line block ×3, first 2 shown]
	v_pk_add_f32 v[32:33], v[28:29], v[30:31]
	v_pk_mul_f32 v[28:29], v[78:79], s[20:21]
	v_mov_b32_e32 v6, v75
	v_pk_add_f32 v[76:77], v[38:39], v[34:35] neg_lo:[0,1] neg_hi:[0,1]
	v_pk_add_f32 v[12:13], v[38:39], v[34:35]
	v_pk_fma_f32 v[34:35], v[6:7], s[6:7], v[28:29] neg_lo:[1,0,0] neg_hi:[1,0,0]
	v_pk_fma_f32 v[30:31], v[6:7], s[6:7], v[28:29]
	v_mov_b32_e32 v80, v12
	v_mov_b32_e32 v35, v31
	;; [unrolled: 1-line block ×3, first 2 shown]
	v_pk_add_f32 v[36:37], v[32:33], v[34:35]
	v_pk_mul_f32 v[32:33], v[80:81], s[26:27]
	v_mov_b32_e32 v12, v77
	v_pk_fma_f32 v[38:39], v[12:13], s[8:9], v[32:33] neg_lo:[1,0,0] neg_hi:[1,0,0]
	v_pk_fma_f32 v[34:35], v[12:13], s[8:9], v[32:33]
	v_mov_b32_e32 v76, v14
	v_mov_b32_e32 v39, v35
	;; [unrolled: 1-line block ×3, first 2 shown]
	v_pk_add_f32 v[40:41], v[36:37], v[38:39]
	v_pk_mul_f32 v[36:37], v[76:77], s[28:29]
	v_mov_b32_e32 v14, v47
	v_pk_fma_f32 v[44:45], v[14:15], s[10:11], v[36:37] neg_lo:[1,0,0] neg_hi:[1,0,0]
	v_pk_fma_f32 v[38:39], v[14:15], s[10:11], v[36:37]
	v_pk_mul_f32 v[50:51], v[56:57], s[20:21]
	v_mov_b32_e32 v45, v39
	v_pk_add_f32 v[40:41], v[40:41], v[44:45]
	v_pk_mul_f32 v[44:45], v[42:43], s[22:23]
	global_store_dwordx2 v[10:11], v[40:41], off offset:56
	v_pk_fma_f32 v[46:47], v[48:49], s[2:3], v[44:45] neg_lo:[1,0,0] neg_hi:[1,0,0]
	v_pk_fma_f32 v[40:41], v[0:1], s[2:3], v[44:45]
	v_pk_fma_f32 v[54:55], v[58:59], s[6:7], v[50:51] neg_lo:[1,0,0] neg_hi:[1,0,0]
	v_mov_b32_e32 v47, v41
	v_pk_add_f32 v[52:53], v[8:9], v[46:47]
	v_pk_fma_f32 v[46:47], v[2:3], s[6:7], v[50:51]
	s_mov_b32 s19, 0x3eedf032
	v_mov_b32_e32 v55, v47
	v_pk_add_f32 v[64:65], v[52:53], v[54:55]
	v_pk_mul_f32 v[54:55], v[60:61], s[28:29]
	s_mov_b32 s16, s19
	v_pk_fma_f32 v[66:67], v[62:63], s[10:11], v[54:55] neg_lo:[1,0,0] neg_hi:[1,0,0]
	v_pk_fma_f32 v[52:53], v[4:5], s[10:11], v[54:55]
	v_pk_mul_f32 v[88:89], v[56:57], s[28:29]
	v_mov_b32_e32 v67, v53
	v_pk_add_f32 v[68:69], v[64:65], v[66:67]
	v_pk_mul_f32 v[66:67], v[78:79], s[36:37]
	v_pk_fma_f32 v[90:91], v[58:59], s[10:11], v[88:89] neg_lo:[1,0,0] neg_hi:[1,0,0]
	v_pk_fma_f32 v[70:71], v[6:7], s[12:13], v[66:67] neg_lo:[1,0,0] neg_hi:[1,0,0]
	v_pk_fma_f32 v[64:65], v[6:7], s[12:13], v[66:67]
	v_pk_fma_f32 v[92:93], v[2:3], s[10:11], v[88:89]
	v_mov_b32_e32 v71, v65
	v_pk_add_f32 v[72:73], v[68:69], v[70:71]
	v_pk_mul_f32 v[70:71], v[80:81], s[30:31]
	v_mov_b32_e32 v91, v93
	v_pk_fma_f32 v[74:75], v[12:13], s[14:15], v[70:71] neg_lo:[1,0,0] neg_hi:[1,0,0]
	v_pk_fma_f32 v[68:69], v[12:13], s[14:15], v[70:71]
	v_pk_mul_f32 v[112:113], v[56:57], s[36:37]
	v_mov_b32_e32 v75, v69
	v_pk_add_f32 v[82:83], v[72:73], v[74:75]
	v_pk_mul_f32 v[74:75], v[76:77], s[18:19]
	v_pk_fma_f32 v[114:115], v[58:59], s[12:13], v[112:113] neg_lo:[1,0,0] neg_hi:[1,0,0]
	v_pk_fma_f32 v[84:85], v[14:15], s[16:17], v[74:75] neg_lo:[1,0,0] neg_hi:[1,0,0]
	v_pk_fma_f32 v[72:73], v[14:15], s[16:17], v[74:75]
	v_pk_fma_f32 v[116:117], v[2:3], s[12:13], v[112:113]
	v_mov_b32_e32 v85, v73
	v_pk_add_f32 v[82:83], v[82:83], v[84:85]
	global_store_dwordx2 v[10:11], v[82:83], off offset:112
	v_pk_mul_f32 v[82:83], v[42:43], s[34:35]
	v_mov_b32_e32 v115, v117
	v_pk_fma_f32 v[84:85], v[48:49], s[4:5], v[82:83] neg_lo:[1,0,0] neg_hi:[1,0,0]
	v_pk_fma_f32 v[86:87], v[0:1], s[4:5], v[82:83]
	s_mov_b32 s36, s41
	v_mov_b32_e32 v85, v87
	v_pk_add_f32 v[84:85], v[8:9], v[84:85]
	s_mov_b32 s37, s22
	v_pk_add_f32 v[84:85], v[84:85], v[90:91]
	v_pk_mul_f32 v[90:91], v[60:61], s[38:39]
	s_mov_b32 s39, 0x3e750f2a
	v_pk_fma_f32 v[94:95], v[62:63], s[24:25], v[90:91] neg_lo:[1,0,0] neg_hi:[1,0,0]
	v_pk_fma_f32 v[96:97], v[4:5], s[24:25], v[90:91]
	s_mov_b32 s38, s28
	v_mov_b32_e32 v95, v97
	v_pk_add_f32 v[84:85], v[84:85], v[94:95]
	v_pk_mul_f32 v[94:95], v[78:79], s[18:19]
	v_pk_mul_f32 v[136:137], v[56:57], s[30:31]
	v_pk_fma_f32 v[98:99], v[6:7], s[16:17], v[94:95] neg_lo:[1,0,0] neg_hi:[1,0,0]
	v_pk_fma_f32 v[100:101], v[6:7], s[16:17], v[94:95]
	v_pk_fma_f32 v[138:139], v[58:59], s[14:15], v[136:137] neg_lo:[1,0,0] neg_hi:[1,0,0]
	v_mov_b32_e32 v99, v101
	v_pk_add_f32 v[84:85], v[84:85], v[98:99]
	v_pk_mul_f32 v[98:99], v[80:81], s[22:23]
	v_pk_fma_f32 v[140:141], v[2:3], s[14:15], v[136:137]
	v_pk_fma_f32 v[102:103], v[12:13], s[2:3], v[98:99] neg_lo:[1,0,0] neg_hi:[1,0,0]
	v_pk_fma_f32 v[104:105], v[12:13], s[2:3], v[98:99]
	v_mov_b32_e32 v139, v141
	v_mov_b32_e32 v103, v105
	v_pk_add_f32 v[84:85], v[84:85], v[102:103]
	v_pk_mul_f32 v[102:103], v[76:77], s[26:27]
	v_pk_mul_f32 v[56:57], v[56:57], s[18:19]
	v_pk_fma_f32 v[106:107], v[14:15], s[8:9], v[102:103] neg_lo:[1,0,0] neg_hi:[1,0,0]
	v_pk_fma_f32 v[108:109], v[14:15], s[8:9], v[102:103]
	v_pk_fma_f32 v[58:59], v[58:59], s[16:17], v[56:57] neg_lo:[1,0,0] neg_hi:[1,0,0]
	v_mov_b32_e32 v107, v109
	v_pk_add_f32 v[84:85], v[84:85], v[106:107]
	global_store_dwordx2 v[10:11], v[84:85], off offset:168
	v_pk_mul_f32 v[84:85], v[42:43], s[20:21]
	s_nop 0
	v_pk_fma_f32 v[106:107], v[48:49], s[6:7], v[84:85] neg_lo:[1,0,0] neg_hi:[1,0,0]
	v_pk_fma_f32 v[110:111], v[0:1], s[6:7], v[84:85]
	s_nop 0
	v_mov_b32_e32 v107, v111
	v_pk_add_f32 v[106:107], v[8:9], v[106:107]
	s_nop 0
	v_pk_add_f32 v[106:107], v[106:107], v[114:115]
	v_pk_mul_f32 v[114:115], v[60:61], s[18:19]
	s_nop 0
	v_pk_fma_f32 v[118:119], v[62:63], s[16:17], v[114:115] neg_lo:[1,0,0] neg_hi:[1,0,0]
	v_pk_fma_f32 v[120:121], v[4:5], s[16:17], v[114:115]
	s_nop 0
	v_mov_b32_e32 v119, v121
	v_pk_add_f32 v[106:107], v[106:107], v[118:119]
	v_pk_mul_f32 v[118:119], v[78:79], s[34:35]
	s_mov_b32 s34, s39
	v_pk_fma_f32 v[122:123], v[6:7], s[4:5], v[118:119] neg_lo:[1,0,0] neg_hi:[1,0,0]
	v_pk_fma_f32 v[124:125], v[6:7], s[4:5], v[118:119]
	s_mov_b32 s35, s28
	v_mov_b32_e32 v123, v125
	v_pk_add_f32 v[106:107], v[106:107], v[122:123]
	v_pk_mul_f32 v[122:123], v[80:81], s[38:39]
	s_nop 0
	v_pk_fma_f32 v[126:127], v[12:13], s[34:35], v[122:123] neg_lo:[1,0,0] neg_hi:[1,0,0]
	v_pk_fma_f32 v[128:129], v[12:13], s[34:35], v[122:123]
	s_nop 0
	v_mov_b32_e32 v127, v129
	v_pk_add_f32 v[106:107], v[106:107], v[126:127]
	v_pk_mul_f32 v[126:127], v[76:77], s[40:41]
	s_nop 0
	v_pk_fma_f32 v[130:131], v[14:15], s[36:37], v[126:127] neg_lo:[1,0,0] neg_hi:[1,0,0]
	v_pk_fma_f32 v[132:133], v[14:15], s[36:37], v[126:127]
	s_nop 0
	v_mov_b32_e32 v131, v133
	v_pk_add_f32 v[106:107], v[106:107], v[130:131]
	global_store_dwordx2 v[10:11], v[106:107], off offset:224
	v_pk_mul_f32 v[106:107], v[42:43], s[26:27]
	v_pk_mul_f32 v[42:43], v[42:43], s[28:29]
	v_pk_fma_f32 v[130:131], v[48:49], s[8:9], v[106:107] neg_lo:[1,0,0] neg_hi:[1,0,0]
	v_pk_fma_f32 v[134:135], v[0:1], s[8:9], v[106:107]
	v_pk_fma_f32 v[48:49], v[48:49], s[10:11], v[42:43] neg_lo:[1,0,0] neg_hi:[1,0,0]
	v_mov_b32_e32 v131, v135
	v_pk_add_f32 v[130:131], v[8:9], v[130:131]
	s_nop 0
	v_pk_add_f32 v[130:131], v[130:131], v[138:139]
	v_pk_mul_f32 v[138:139], v[60:61], s[22:23]
	s_nop 0
	v_pk_fma_f32 v[142:143], v[62:63], s[2:3], v[138:139] neg_lo:[1,0,0] neg_hi:[1,0,0]
	v_pk_fma_f32 v[144:145], v[4:5], s[2:3], v[138:139]
	s_nop 0
	v_mov_b32_e32 v143, v145
	v_pk_add_f32 v[130:131], v[130:131], v[142:143]
	v_pk_mul_f32 v[142:143], v[78:79], s[38:39]
	s_nop 0
	v_pk_fma_f32 v[146:147], v[6:7], s[34:35], v[142:143] neg_lo:[1,0,0] neg_hi:[1,0,0]
	v_pk_fma_f32 v[148:149], v[6:7], s[34:35], v[142:143]
	s_nop 0
	v_mov_b32_e32 v147, v149
	;; [unrolled: 7-line block ×3, first 2 shown]
	v_pk_add_f32 v[130:131], v[130:131], v[150:151]
	v_pk_mul_f32 v[150:151], v[76:77], s[20:21]
	v_pk_mul_f32 v[76:77], v[76:77], s[30:31]
	v_pk_fma_f32 v[154:155], v[14:15], s[6:7], v[150:151] neg_lo:[1,0,0] neg_hi:[1,0,0]
	v_pk_fma_f32 v[156:157], v[14:15], s[6:7], v[150:151]
	v_pk_fma_f32 v[162:163], v[14:15], s[14:15], v[76:77]
	v_mov_b32_e32 v155, v157
	v_pk_add_f32 v[130:131], v[130:131], v[154:155]
	global_store_dwordx2 v[10:11], v[130:131], off offset:280
	v_pk_fma_f32 v[130:131], v[0:1], s[10:11], v[42:43]
	v_pk_fma_f32 v[154:155], v[2:3], s[16:17], v[56:57]
	v_mov_b32_e32 v49, v131
	v_pk_add_f32 v[48:49], v[8:9], v[48:49]
	v_mov_b32_e32 v59, v155
	v_pk_add_f32 v[48:49], v[48:49], v[58:59]
	v_pk_mul_f32 v[58:59], v[60:61], s[26:27]
	v_pk_fma_f32 v[42:43], v[0:1], s[10:11], v[42:43] neg_lo:[0,0,1] neg_hi:[0,0,1]
	v_pk_fma_f32 v[60:61], v[62:63], s[8:9], v[58:59] neg_lo:[1,0,0] neg_hi:[1,0,0]
	v_pk_fma_f32 v[62:63], v[4:5], s[8:9], v[58:59]
	v_mov_b32_e32 v131, v43
	v_mov_b32_e32 v61, v63
	v_pk_add_f32 v[48:49], v[48:49], v[60:61]
	v_pk_mul_f32 v[60:61], v[78:79], s[40:41]
	v_pk_fma_f32 v[42:43], v[2:3], s[16:17], v[56:57] neg_lo:[0,0,1] neg_hi:[0,0,1]
	v_pk_fma_f32 v[78:79], v[6:7], s[36:37], v[60:61] neg_lo:[1,0,0] neg_hi:[1,0,0]
	v_pk_fma_f32 v[158:159], v[6:7], s[36:37], v[60:61]
	v_mov_b32_e32 v155, v43
	v_mov_b32_e32 v79, v159
	v_pk_add_f32 v[48:49], v[48:49], v[78:79]
	v_pk_mul_f32 v[78:79], v[80:81], s[20:21]
	v_pk_add_f32 v[42:43], v[8:9], v[130:131]
	v_pk_fma_f32 v[80:81], v[12:13], s[6:7], v[78:79] neg_lo:[1,0,0] neg_hi:[1,0,0]
	v_pk_fma_f32 v[160:161], v[12:13], s[6:7], v[78:79]
	v_pk_add_f32 v[42:43], v[42:43], v[154:155]
	v_mov_b32_e32 v81, v161
	v_pk_add_f32 v[48:49], v[48:49], v[80:81]
	v_pk_fma_f32 v[80:81], v[14:15], s[14:15], v[76:77] neg_lo:[1,0,0] neg_hi:[1,0,0]
	s_nop 0
	v_mov_b32_e32 v81, v163
	v_pk_add_f32 v[48:49], v[48:49], v[80:81]
	global_store_dwordx2 v[10:11], v[48:49], off offset:336
	v_pk_fma_f32 v[48:49], v[4:5], s[8:9], v[58:59] neg_lo:[0,0,1] neg_hi:[0,0,1]
	s_nop 0
	v_mov_b32_e32 v63, v49
	v_pk_fma_f32 v[48:49], v[6:7], s[36:37], v[60:61] neg_lo:[0,0,1] neg_hi:[0,0,1]
	v_pk_add_f32 v[42:43], v[42:43], v[62:63]
	v_mov_b32_e32 v159, v49
	v_pk_fma_f32 v[48:49], v[12:13], s[6:7], v[78:79] neg_lo:[0,0,1] neg_hi:[0,0,1]
	v_pk_add_f32 v[42:43], v[42:43], v[158:159]
	;; [unrolled: 3-line block ×3, first 2 shown]
	v_mov_b32_e32 v163, v49
	v_pk_add_f32 v[42:43], v[42:43], v[162:163]
	global_store_dwordx2 v[10:11], v[42:43], off offset:392
	v_pk_fma_f32 v[42:43], v[0:1], s[8:9], v[106:107] neg_lo:[0,0,1] neg_hi:[0,0,1]
	v_pk_fma_f32 v[48:49], v[4:5], s[2:3], v[138:139] neg_lo:[0,0,1] neg_hi:[0,0,1]
	v_mov_b32_e32 v135, v43
	v_pk_fma_f32 v[42:43], v[2:3], s[14:15], v[136:137] neg_lo:[0,0,1] neg_hi:[0,0,1]
	v_mov_b32_e32 v145, v49
	v_mov_b32_e32 v141, v43
	v_pk_add_f32 v[42:43], v[8:9], v[134:135]
	v_pk_fma_f32 v[48:49], v[6:7], s[34:35], v[142:143] neg_lo:[0,0,1] neg_hi:[0,0,1]
	v_pk_add_f32 v[42:43], v[42:43], v[140:141]
	v_mov_b32_e32 v149, v49
	v_pk_add_f32 v[42:43], v[42:43], v[144:145]
	v_pk_fma_f32 v[48:49], v[12:13], s[16:17], v[146:147] neg_lo:[0,0,1] neg_hi:[0,0,1]
	v_pk_add_f32 v[42:43], v[42:43], v[148:149]
	v_mov_b32_e32 v153, v49
	v_pk_fma_f32 v[48:49], v[14:15], s[6:7], v[150:151] neg_lo:[0,0,1] neg_hi:[0,0,1]
	v_pk_add_f32 v[42:43], v[42:43], v[152:153]
	v_mov_b32_e32 v157, v49
	v_pk_add_f32 v[42:43], v[42:43], v[156:157]
	global_store_dwordx2 v[10:11], v[42:43], off offset:448
	v_pk_fma_f32 v[42:43], v[0:1], s[6:7], v[84:85] neg_lo:[0,0,1] neg_hi:[0,0,1]
	v_pk_fma_f32 v[48:49], v[4:5], s[16:17], v[114:115] neg_lo:[0,0,1] neg_hi:[0,0,1]
	v_mov_b32_e32 v111, v43
	v_pk_fma_f32 v[42:43], v[2:3], s[12:13], v[112:113] neg_lo:[0,0,1] neg_hi:[0,0,1]
	v_mov_b32_e32 v121, v49
	v_mov_b32_e32 v117, v43
	v_pk_add_f32 v[42:43], v[8:9], v[110:111]
	v_pk_fma_f32 v[48:49], v[6:7], s[4:5], v[118:119] neg_lo:[0,0,1] neg_hi:[0,0,1]
	v_pk_add_f32 v[42:43], v[42:43], v[116:117]
	v_mov_b32_e32 v125, v49
	v_pk_add_f32 v[42:43], v[42:43], v[120:121]
	v_pk_fma_f32 v[48:49], v[12:13], s[34:35], v[122:123] neg_lo:[0,0,1] neg_hi:[0,0,1]
	v_pk_add_f32 v[42:43], v[42:43], v[124:125]
	v_mov_b32_e32 v129, v49
	v_pk_fma_f32 v[48:49], v[14:15], s[36:37], v[126:127] neg_lo:[0,0,1] neg_hi:[0,0,1]
	v_pk_add_f32 v[42:43], v[42:43], v[128:129]
	;; [unrolled: 19-line block ×3, first 2 shown]
	v_mov_b32_e32 v109, v49
	v_pk_add_f32 v[42:43], v[42:43], v[108:109]
	global_store_dwordx2 v[10:11], v[42:43], off offset:560
	v_pk_fma_f32 v[42:43], v[0:1], s[2:3], v[44:45] neg_lo:[0,0,1] neg_hi:[0,0,1]
	v_pk_fma_f32 v[0:1], v[0:1], s[0:1], v[16:17] neg_lo:[0,0,1] neg_hi:[0,0,1]
	v_mov_b32_e32 v41, v43
	v_pk_fma_f32 v[42:43], v[2:3], s[6:7], v[50:51] neg_lo:[0,0,1] neg_hi:[0,0,1]
	v_mov_b32_e32 v19, v1
	;; [unrolled: 2-line block ×3, first 2 shown]
	v_pk_add_f32 v[40:41], v[8:9], v[40:41]
	v_pk_fma_f32 v[42:43], v[4:5], s[10:11], v[54:55] neg_lo:[0,0,1] neg_hi:[0,0,1]
	v_pk_add_f32 v[0:1], v[8:9], v[18:19]
	v_mov_b32_e32 v23, v3
	v_pk_fma_f32 v[2:3], v[4:5], s[4:5], v[24:25] neg_lo:[0,0,1] neg_hi:[0,0,1]
	v_pk_add_f32 v[40:41], v[40:41], v[46:47]
	v_mov_b32_e32 v53, v43
	;; [unrolled: 3-line block ×8, first 2 shown]
	v_pk_add_f32 v[0:1], v[0:1], v[34:35]
	v_mov_b32_e32 v39, v3
	v_pk_add_f32 v[40:41], v[40:41], v[72:73]
	v_pk_add_f32 v[0:1], v[0:1], v[38:39]
	global_store_dwordx2 v[10:11], v[40:41], off offset:616
	global_store_dwordx2 v[10:11], v[0:1], off offset:672
	s_endpgm
	.section	.rodata,"a",@progbits
	.p2align	6, 0x0
	.amdhsa_kernel fft_rtc_fwd_len91_factors_7_13_wgs_247_tpt_13_sp_ip_CI_unitstride_sbrr_dirReg
		.amdhsa_group_segment_fixed_size 0
		.amdhsa_private_segment_fixed_size 0
		.amdhsa_kernarg_size 88
		.amdhsa_user_sgpr_count 2
		.amdhsa_user_sgpr_dispatch_ptr 0
		.amdhsa_user_sgpr_queue_ptr 0
		.amdhsa_user_sgpr_kernarg_segment_ptr 1
		.amdhsa_user_sgpr_dispatch_id 0
		.amdhsa_user_sgpr_kernarg_preload_length 0
		.amdhsa_user_sgpr_kernarg_preload_offset 0
		.amdhsa_user_sgpr_private_segment_size 0
		.amdhsa_uses_dynamic_stack 0
		.amdhsa_enable_private_segment 0
		.amdhsa_system_sgpr_workgroup_id_x 1
		.amdhsa_system_sgpr_workgroup_id_y 0
		.amdhsa_system_sgpr_workgroup_id_z 0
		.amdhsa_system_sgpr_workgroup_info 0
		.amdhsa_system_vgpr_workitem_id 0
		.amdhsa_next_free_vgpr 164
		.amdhsa_next_free_sgpr 42
		.amdhsa_accum_offset 164
		.amdhsa_reserve_vcc 1
		.amdhsa_float_round_mode_32 0
		.amdhsa_float_round_mode_16_64 0
		.amdhsa_float_denorm_mode_32 3
		.amdhsa_float_denorm_mode_16_64 3
		.amdhsa_dx10_clamp 1
		.amdhsa_ieee_mode 1
		.amdhsa_fp16_overflow 0
		.amdhsa_tg_split 0
		.amdhsa_exception_fp_ieee_invalid_op 0
		.amdhsa_exception_fp_denorm_src 0
		.amdhsa_exception_fp_ieee_div_zero 0
		.amdhsa_exception_fp_ieee_overflow 0
		.amdhsa_exception_fp_ieee_underflow 0
		.amdhsa_exception_fp_ieee_inexact 0
		.amdhsa_exception_int_div_zero 0
	.end_amdhsa_kernel
	.text
.Lfunc_end0:
	.size	fft_rtc_fwd_len91_factors_7_13_wgs_247_tpt_13_sp_ip_CI_unitstride_sbrr_dirReg, .Lfunc_end0-fft_rtc_fwd_len91_factors_7_13_wgs_247_tpt_13_sp_ip_CI_unitstride_sbrr_dirReg
                                        ; -- End function
	.section	.AMDGPU.csdata,"",@progbits
; Kernel info:
; codeLenInByte = 5396
; NumSgprs: 48
; NumVgprs: 164
; NumAgprs: 0
; TotalNumVgprs: 164
; ScratchSize: 0
; MemoryBound: 0
; FloatMode: 240
; IeeeMode: 1
; LDSByteSize: 0 bytes/workgroup (compile time only)
; SGPRBlocks: 5
; VGPRBlocks: 20
; NumSGPRsForWavesPerEU: 48
; NumVGPRsForWavesPerEU: 164
; AccumOffset: 164
; Occupancy: 3
; WaveLimiterHint : 1
; COMPUTE_PGM_RSRC2:SCRATCH_EN: 0
; COMPUTE_PGM_RSRC2:USER_SGPR: 2
; COMPUTE_PGM_RSRC2:TRAP_HANDLER: 0
; COMPUTE_PGM_RSRC2:TGID_X_EN: 1
; COMPUTE_PGM_RSRC2:TGID_Y_EN: 0
; COMPUTE_PGM_RSRC2:TGID_Z_EN: 0
; COMPUTE_PGM_RSRC2:TIDIG_COMP_CNT: 0
; COMPUTE_PGM_RSRC3_GFX90A:ACCUM_OFFSET: 40
; COMPUTE_PGM_RSRC3_GFX90A:TG_SPLIT: 0
	.text
	.p2alignl 6, 3212836864
	.fill 256, 4, 3212836864
	.type	__hip_cuid_586b3781589f00b3,@object ; @__hip_cuid_586b3781589f00b3
	.section	.bss,"aw",@nobits
	.globl	__hip_cuid_586b3781589f00b3
__hip_cuid_586b3781589f00b3:
	.byte	0                               ; 0x0
	.size	__hip_cuid_586b3781589f00b3, 1

	.ident	"AMD clang version 19.0.0git (https://github.com/RadeonOpenCompute/llvm-project roc-6.4.0 25133 c7fe45cf4b819c5991fe208aaa96edf142730f1d)"
	.section	".note.GNU-stack","",@progbits
	.addrsig
	.addrsig_sym __hip_cuid_586b3781589f00b3
	.amdgpu_metadata
---
amdhsa.kernels:
  - .agpr_count:     0
    .args:
      - .actual_access:  read_only
        .address_space:  global
        .offset:         0
        .size:           8
        .value_kind:     global_buffer
      - .offset:         8
        .size:           8
        .value_kind:     by_value
      - .actual_access:  read_only
        .address_space:  global
        .offset:         16
        .size:           8
        .value_kind:     global_buffer
      - .actual_access:  read_only
        .address_space:  global
        .offset:         24
        .size:           8
        .value_kind:     global_buffer
      - .offset:         32
        .size:           8
        .value_kind:     by_value
      - .actual_access:  read_only
        .address_space:  global
        .offset:         40
        .size:           8
        .value_kind:     global_buffer
      - .actual_access:  read_only
        .address_space:  global
        .offset:         48
        .size:           8
        .value_kind:     global_buffer
      - .offset:         56
        .size:           4
        .value_kind:     by_value
      - .actual_access:  read_only
        .address_space:  global
        .offset:         64
        .size:           8
        .value_kind:     global_buffer
      - .actual_access:  read_only
        .address_space:  global
        .offset:         72
        .size:           8
        .value_kind:     global_buffer
      - .address_space:  global
        .offset:         80
        .size:           8
        .value_kind:     global_buffer
    .group_segment_fixed_size: 0
    .kernarg_segment_align: 8
    .kernarg_segment_size: 88
    .language:       OpenCL C
    .language_version:
      - 2
      - 0
    .max_flat_workgroup_size: 247
    .name:           fft_rtc_fwd_len91_factors_7_13_wgs_247_tpt_13_sp_ip_CI_unitstride_sbrr_dirReg
    .private_segment_fixed_size: 0
    .sgpr_count:     48
    .sgpr_spill_count: 0
    .symbol:         fft_rtc_fwd_len91_factors_7_13_wgs_247_tpt_13_sp_ip_CI_unitstride_sbrr_dirReg.kd
    .uniform_work_group_size: 1
    .uses_dynamic_stack: false
    .vgpr_count:     164
    .vgpr_spill_count: 0
    .wavefront_size: 64
amdhsa.target:   amdgcn-amd-amdhsa--gfx950
amdhsa.version:
  - 1
  - 2
...

	.end_amdgpu_metadata
